;; amdgpu-corpus repo=ROCm/aiter kind=harvested arch=n/a opt=n/a

/root/src/amdgpu-assembly/repos/ROCm__aiter/hsa/gfx942/fmha_v3_bwd/bwd_hd128_odo_fp16_group.co:	file format elf64-amdgpu

Disassembly of section .text:

0000000000002400 <_ZN5aiter29fmha_bwd_hd128_odo_fp16_groupE>:
	s_and_b32 s1, s1, 0xffff                                   // 000000002400: 8601FF01 0000FFFF
	s_load_dwordx2 s[12:13], s[0:1], 0x0                       // 000000002408: C0060300 00000000
	s_load_dwordx2 s[20:21], s[0:1], 0x10                      // 000000002410: C0060500 00000010
	s_load_dwordx2 s[16:17], s[0:1], 0x20                      // 000000002418: C0060400 00000020
	s_load_dword s6, s[0:1], 0x30                              // 000000002420: C0020180 00000030
	s_load_dword s8, s[0:1], 0x50                              // 000000002428: C0020200 00000050
	s_load_dword s50, s[0:1], 0x60                             // 000000002430: C0020C80 00000060
	s_load_dword s52, s[0:1], 0x80                             // 000000002438: C0020D00 00000080
	s_load_dword s9, s[0:1], 0x90                              // 000000002440: C0020240 00000090
	s_load_dword s11, s[0:1], 0xb0                             // 000000002448: C00202C0 000000B0
	s_load_dword s37, s[0:1], 0xd0                             // 000000002450: C0020940 000000D0
	s_load_dwordx2 s[40:41], s[0:1], 0xe0                      // 000000002458: C0060A00 000000E0
	s_load_dwordx2 s[44:45], s[0:1], 0xf0                      // 000000002460: C0060B00 000000F0
	v_lshrrev_b32_e32 v1, 10, v0                               // 000000002468: 2002008A
	v_lshrrev_b32_e32 v2, 10, v1                               // 00000000246C: 2004028A
	v_and_b32_e32 v2, 0x3ff, v2                                // 000000002470: 260404FF 000003FF
	v_and_b32_e32 v1, 0x3ff, v1                                // 000000002478: 260202FF 000003FF
	v_and_b32_e32 v0, 0x3ff, v0                                // 000000002480: 260000FF 000003FF
	v_lshrrev_b32_e32 v3, 6, v0                                // 000000002488: 20060086
	v_and_b32_e32 v0, 63, v0                                   // 00000000248C: 260000BF
	s_mov_b32 s2, s2                                           // 000000002490: BE820002
	s_mov_b32 s3, s3                                           // 000000002494: BE830003
	s_mov_b32 s4, s4                                           // 000000002498: BE840004
	v_readfirstlane_b32 s30, v3                                // 00000000249C: 7E3C0503
	s_waitcnt lgkmcnt(0)                                       // 0000000024A0: BF8CC07F
	s_mul_i32 s31, s4, 4                                       // 0000000024A4: 921F8404
	s_add_u32 s40, s31, s40                                    // 0000000024A8: 8028281F
	s_addc_u32 s41, 0, s41                                     // 0000000024AC: 82292980
	s_load_dwordx2 s[42:43], s[40:41], 0x0                     // 0000000024B0: C0060A94 00000000
	s_add_u32 s44, s31, s44                                    // 0000000024B8: 802C2C1F
	s_addc_u32 s45, 0, s45                                     // 0000000024BC: 822D2D80
	s_load_dword s46, s[44:45], 0x0                            // 0000000024C0: C0020B96 00000000
	s_mov_b32 s15, 0x20000                                     // 0000000024C8: BE8F00FF 00020000
	s_mov_b32 s19, 0x20000                                     // 0000000024D0: BE9300FF 00020000
	s_mov_b32 s23, 0x20000                                     // 0000000024D8: BE9700FF 00020000
	s_and_b32 s13, s13, 0xffff                                 // 0000000024E0: 860DFF0D 0000FFFF
	s_and_b32 s17, s17, 0xffff                                 // 0000000024E8: 8611FF11 0000FFFF
	s_and_b32 s21, s21, 0xffff                                 // 0000000024F0: 8615FF15 0000FFFF
	s_or_b32 s13, s13, 0x40000                                 // 0000000024F8: 870DFF0D 00040000
	s_or_b32 s17, s17, 0x40000                                 // 000000002500: 8711FF11 00040000
	s_or_b32 s21, s21, 0x40000                                 // 000000002508: 8715FF15 00040000
	v_mov_b32_e32 v39, 0                                       // 000000002510: 7E4E0280
	s_mov_b32 s24, s12                                         // 000000002514: BE98000C
	s_mov_b32 s25, s13                                         // 000000002518: BE99000D
	s_mov_b32 s26, s16                                         // 00000000251C: BE9A0010
	s_mov_b32 s27, s17                                         // 000000002520: BE9B0011
	s_mov_b32 s28, s20                                         // 000000002524: BE9C0014
	s_mov_b32 s29, s21                                         // 000000002528: BE9D0015
	s_waitcnt lgkmcnt(0)                                       // 00000000252C: BF8CC07F
	s_mul_i32 s31, s2, 0x80                                    // 000000002530: 921FFF02 00000080
	s_sub_i32 s39, s43, s42                                    // 000000002538: 81A72A2B
	s_mov_b32 s42, s46                                         // 00000000253C: BEAA002E
	s_cmp_ge_i32 s31, s39                                      // 000000002540: BF03271F
	s_cbranch_scc1 label_03A1                                  // 000000002544: BF85034F
	s_mul_i32 s31, s8, 0x80                                    // 000000002548: 921FFF08 00000080
	s_mul_i32 s31, s2, s31                                     // 000000002550: 921F1F02
	s_mul_i32 s32, s3, s6                                      // 000000002554: 92200603
	s_mul_i32 s33, s42, s8                                     // 000000002558: 9221082A
	s_add_u32 s34, s31, s32                                    // 00000000255C: 8022201F
	s_add_u32 s34, s34, s33                                    // 000000002560: 80222122
	s_mul_i32 s32, s39, s8                                     // 000000002564: 92200827
	s_sub_i32 s32, s32, s31                                    // 000000002568: 81A01F20
	s_mov_b32 s14, s32                                         // 00000000256C: BE8E0020
	s_add_u32 s12, s34, s24                                    // 000000002570: 800C1822
	s_addc_u32 s13, 0, s25                                     // 000000002574: 820D1980
	s_mul_i32 s31, s52, 0x80                                   // 000000002578: 921FFF34 00000080
	s_mul_i32 s31, s2, s31                                     // 000000002580: 921F1F02
	s_mul_i32 s32, s3, s50                                     // 000000002584: 92203203
	s_mul_i32 s33, s42, s52                                    // 000000002588: 9221342A
	s_add_u32 s53, s31, s32                                    // 00000000258C: 8035201F
	s_add_u32 s53, s53, s33                                    // 000000002590: 80352135
	s_mul_i32 s32, s39, s52                                    // 000000002594: 92203427
	s_sub_i32 s32, s32, s31                                    // 000000002598: 81A01F20
	s_mov_b32 s22, s32                                         // 00000000259C: BE960020
	s_add_u32 s20, s53, s28                                    // 0000000025A0: 80141C35
	s_addc_u32 s21, 0, s29                                     // 0000000025A4: 82151D80
	s_mul_i32 s31, s11, 0x80                                   // 0000000025A8: 921FFF0B 00000080
	s_mul_i32 s31, s2, s31                                     // 0000000025B0: 921F1F02
	s_mul_i32 s32, s3, s9                                      // 0000000025B4: 92200903
	s_mul_i32 s33, s42, s11                                    // 0000000025B8: 92210B2A
	s_add_u32 s35, s31, s32                                    // 0000000025BC: 8023201F
	s_add_u32 s35, s35, s33                                    // 0000000025C0: 80232123
	s_mul_i32 s32, s39, s11                                    // 0000000025C4: 92200B27
	s_sub_i32 s32, s32, s31                                    // 0000000025C8: 81A01F20
	s_mov_b32 s18, s32                                         // 0000000025CC: BE920020
	s_add_u32 s16, s35, s26                                    // 0000000025D0: 80101A23
	s_addc_u32 s17, 0, s27                                     // 0000000025D4: 82111B80
	v_readfirstlane_b32 s30, v3                                // 0000000025D8: 7E3C0503
	v_lshrrev_b32_e32 v28, 3, v0                               // 0000000025DC: 20380083
	v_mul_i32_i24_e32 v28, s8, v28                             // 0000000025E0: 0C383808
	v_and_b32_e32 v29, 7, v0                                   // 0000000025E4: 263A0087
	v_mul_i32_i24_e32 v29, 16, v29                             // 0000000025E8: 0C3A3A90
	v_add_u32_e32 v29, v28, v29                                // 0000000025EC: 683A3B1C
	v_mov_b32_e32 v4, v29                                      // 0000000025F0: 7E08031D
	s_mul_i32 s31, 32, s8                                      // 0000000025F4: 921F08A0
	s_mul_i32 s31, s30, s31                                    // 0000000025F8: 921F1F1E
	v_add_u32_e32 v4, s31, v4                                  // 0000000025FC: 6808081F
	v_lshrrev_b32_e32 v28, 3, v0                               // 000000002600: 20380083
	v_mul_i32_i24_e32 v28, s52, v28                            // 000000002604: 0C383834
	v_and_b32_e32 v29, 7, v0                                   // 000000002608: 263A0087
	v_mul_i32_i24_e32 v29, 16, v29                             // 00000000260C: 0C3A3A90
	v_add_u32_e32 v29, v28, v29                                // 000000002610: 683A3B1C
	v_mov_b32_e32 v37, v29                                     // 000000002614: 7E4A031D
	s_mul_i32 s31, 32, s52                                     // 000000002618: 921F34A0
	s_mul_i32 s31, s30, s31                                    // 00000000261C: 921F1F1E
	v_add_u32_e32 v37, s31, v37                                // 000000002620: 684A4A1F
	v_lshrrev_b32_e32 v5, 3, v0                                // 000000002624: 200A0083
	v_mul_i32_i24_e32 v5, s11, v5                              // 000000002628: 0C0A0A0B
	v_and_b32_e32 v28, 7, v0                                   // 00000000262C: 26380087
	v_lshrrev_b32_e32 v28, 1, v28                              // 000000002630: 20383881
	v_lshlrev_b32_e32 v28, 5, v28                              // 000000002634: 24383885
	v_add_u32_e32 v5, v5, v28                                  // 000000002638: 680A3905
	s_mul_i32 s31, 32, s11                                     // 00000000263C: 921F0BA0
	s_mul_i32 s31, s30, s31                                    // 000000002640: 921F1F1E
	v_add_u32_e32 v5, s31, v5                                  // 000000002644: 680A0A1F
	v_and_b32_e32 v28, 7, v0                                   // 000000002648: 26380087
	v_lshlrev_b32_e32 v28, 3, v28                              // 00000000264C: 24383883
	s_sub_i32 s31, s37, 64                                     // 000000002650: 819FC025
	v_cmp_lt_u32_e64 s[36:37], v28, s31                        // 000000002654: D0C90024 00003F1C
	v_and_b32_e32 v28, 1, v0                                   // 00000000265C: 26380081
	v_cmp_eq_u32_e64 s[38:39], v28, 0                          // 000000002660: D0CA0026 0001011C
	v_lshlrev_b32_e32 v24, 2, v0                               // 000000002668: 24300082
	s_lshl_b32 s31, s30, 8                                     // 00000000266C: 8E1F881E
	v_add_u32_e32 v24, s31, v24                                // 000000002670: 6830301F
	v_lshrrev_b32_e32 v26, 3, v0                               // 000000002674: 20340083
	v_mul_i32_i24_e32 v26, 32, v26                             // 000000002678: 0C3434A0
	v_add_u32_e32 v26, s31, v26                                // 00000000267C: 6834341F
	v_add_u32_e32 v27, 16, v26                                 // 000000002680: 68363490
	v_mov_b32_e32 v22, 0                                       // 000000002684: 7E2C0280
	s_mul_i32 s31, s8, 0                                       // 000000002688: 921F8008
	s_lshl_b32 s31, s31, 3                                     // 00000000268C: 8E1F831F
	v_add_u32_e32 v23, s31, v4                                 // 000000002690: 682E081F
	s_mul_i32 s31, s52, 0                                      // 000000002694: 921F8034
	s_lshl_b32 s31, s31, 3                                     // 000000002698: 8E1F831F
	v_add_u32_e32 v38, s31, v37                                // 00000000269C: 684C4A1F
	v_and_b32_e32 v36, 7, v0                                   // 0000000026A0: 26480087
	v_cmp_eq_u32_e64 s[48:49], v36, 0                          // 0000000026A4: D0CA0030 00010124
	buffer_load_dwordx4 v[14:17], v38, s[20:23], 0 offen       // 0000000026AC: E05C1000 80050E26
	buffer_load_dwordx4 v[6:9], v23, s[12:15], 0 offen         // 0000000026B4: E05C1000 80030617
	v_add_u32_e32 v23, 0x80, v23                               // 0000000026BC: 682E2EFF 00000080
	v_add_u32_e32 v38, 0x80, v38                               // 0000000026C4: 684C4CFF 00000080
	s_waitcnt vmcnt(0) expcnt(0) lgkmcnt(0)                    // 0000000026CC: BF8C0000
	s_barrier                                                  // 0000000026D0: BF8A0000
	v_mov_b32_e32 v18, 0                                       // 0000000026D4: 7E240280
	v_mov_b32_e32 v10, 0                                       // 0000000026D8: 7E140280
	v_mov_b32_e32 v19, 0                                       // 0000000026DC: 7E260280
	v_mov_b32_e32 v11, 0                                       // 0000000026E0: 7E160280
	v_mov_b32_e32 v20, 0                                       // 0000000026E4: 7E280280
	v_mov_b32_e32 v12, 0                                       // 0000000026E8: 7E180280
	v_mov_b32_e32 v21, 0                                       // 0000000026EC: 7E2A0280
	v_mov_b32_e32 v13, 0                                       // 0000000026F0: 7E1A0280
	s_mov_b64 exec, s[36:37]                                   // 0000000026F4: BEFE0124
	buffer_load_dwordx4 v[18:21], v38, s[20:23], 0 offen       // 0000000026F8: E05C1000 80051226
	buffer_load_dwordx4 v[10:13], v23, s[12:15], 0 offen       // 000000002700: E05C1000 80030A17
	s_mov_b64 exec, -1                                         // 000000002708: BEFE01C1
	v_add_u32_e32 v23, 0x80, v23                               // 00000000270C: 682E2EFF 00000080
	v_add_u32_e32 v38, 0x80, v38                               // 000000002714: 684C4CFF 00000080
	v_mov_b32_e32 v32, 0                                       // 00000000271C: 7E400280
	v_and_b32_e32 v28, 0xffff, v6                              // 000000002720: 26380CFF 0000FFFF
	v_lshrrev_b32_e32 v29, 16, v6                              // 000000002728: 203A0C90
	v_and_b32_e32 v30, 0xffff, v14                             // 00000000272C: 263C1CFF 0000FFFF
	v_lshrrev_b32_e32 v31, 16, v14                             // 000000002734: 203E1C90
	v_cvt_f32_f16_e32 v28, v28                                 // 000000002738: 7E38171C
	v_cvt_f32_f16_e32 v30, v30                                 // 00000000273C: 7E3C171E
	v_cvt_f32_f16_e32 v29, v29                                 // 000000002740: 7E3A171D
	v_cvt_f32_f16_e32 v31, v31                                 // 000000002744: 7E3E171F
	v_fma_f32 v32, v28, v30, v32                               // 000000002748: D1CB0020 04823D1C
	v_fma_f32 v32, v29, v31, v32                               // 000000002750: D1CB0020 04823F1D
	v_and_b32_e32 v28, 0xffff, v7                              // 000000002758: 26380EFF 0000FFFF
	v_lshrrev_b32_e32 v29, 16, v7                              // 000000002760: 203A0E90
	v_and_b32_e32 v30, 0xffff, v15                             // 000000002764: 263C1EFF 0000FFFF
	v_lshrrev_b32_e32 v31, 16, v15                             // 00000000276C: 203E1E90
	v_cvt_f32_f16_e32 v28, v28                                 // 000000002770: 7E38171C
	v_cvt_f32_f16_e32 v30, v30                                 // 000000002774: 7E3C171E
	v_cvt_f32_f16_e32 v29, v29                                 // 000000002778: 7E3A171D
	v_cvt_f32_f16_e32 v31, v31                                 // 00000000277C: 7E3E171F
	v_fma_f32 v32, v28, v30, v32                               // 000000002780: D1CB0020 04823D1C
	v_fma_f32 v32, v29, v31, v32                               // 000000002788: D1CB0020 04823F1D
	v_and_b32_e32 v28, 0xffff, v8                              // 000000002790: 263810FF 0000FFFF
	v_lshrrev_b32_e32 v29, 16, v8                              // 000000002798: 203A1090
	v_and_b32_e32 v30, 0xffff, v16                             // 00000000279C: 263C20FF 0000FFFF
	v_lshrrev_b32_e32 v31, 16, v16                             // 0000000027A4: 203E2090
	v_cvt_f32_f16_e32 v28, v28                                 // 0000000027A8: 7E38171C
	v_cvt_f32_f16_e32 v30, v30                                 // 0000000027AC: 7E3C171E
	v_cvt_f32_f16_e32 v29, v29                                 // 0000000027B0: 7E3A171D
	v_cvt_f32_f16_e32 v31, v31                                 // 0000000027B4: 7E3E171F
	v_fma_f32 v32, v28, v30, v32                               // 0000000027B8: D1CB0020 04823D1C
	v_fma_f32 v32, v29, v31, v32                               // 0000000027C0: D1CB0020 04823F1D
	v_and_b32_e32 v28, 0xffff, v9                              // 0000000027C8: 263812FF 0000FFFF
	v_lshrrev_b32_e32 v29, 16, v9                              // 0000000027D0: 203A1290
	v_and_b32_e32 v30, 0xffff, v17                             // 0000000027D4: 263C22FF 0000FFFF
	v_lshrrev_b32_e32 v31, 16, v17                             // 0000000027DC: 203E2290
	v_cvt_f32_f16_e32 v28, v28                                 // 0000000027E0: 7E38171C
	v_cvt_f32_f16_e32 v30, v30                                 // 0000000027E4: 7E3C171E
	v_cvt_f32_f16_e32 v29, v29                                 // 0000000027E8: 7E3A171D
	v_cvt_f32_f16_e32 v31, v31                                 // 0000000027EC: 7E3E171F
	v_fma_f32 v32, v28, v30, v32                               // 0000000027F0: D1CB0020 04823D1C
	v_fma_f32 v32, v29, v31, v32                               // 0000000027F8: D1CB0020 04823F1D
	ds_write_b32 v24, v32                                      // 000000002800: D81A0000 00002018
	s_waitcnt lgkmcnt(0)                                       // 000000002808: BF8CC07F
	s_mov_b64 exec, s[48:49]                                   // 00000000280C: BEFE0130
	ds_read_b128 v[28:31], v26                                 // 000000002810: D9FE0000 1C00001A
	s_waitcnt lgkmcnt(0)                                       // 000000002818: BF8CC07F
	ds_read_b128 v[32:35], v27                                 // 00000000281C: D9FE0000 2000001B
	s_waitcnt lgkmcnt(0)                                       // 000000002824: BF8CC07F
	v_add_f32_e32 v22, v28, v22                                // 000000002828: 022C2D1C
	v_add_f32_e32 v22, v29, v22                                // 00000000282C: 022C2D1D
	v_add_f32_e32 v22, v30, v22                                // 000000002830: 022C2D1E
	v_add_f32_e32 v22, v31, v22                                // 000000002834: 022C2D1F
	v_add_f32_e32 v22, v32, v22                                // 000000002838: 022C2D20
	v_add_f32_e32 v22, v33, v22                                // 00000000283C: 022C2D21
	v_add_f32_e32 v22, v34, v22                                // 000000002840: 022C2D22
	v_add_f32_e32 v22, v35, v22                                // 000000002844: 022C2D23
	s_mov_b64 exec, -1                                         // 000000002848: BEFE01C1
	s_waitcnt vmcnt(0) expcnt(0) lgkmcnt(0)                    // 00000000284C: BF8C0000
	s_barrier                                                  // 000000002850: BF8A0000
	v_mov_b32_e32 v32, 0                                       // 000000002854: 7E400280
	v_and_b32_e32 v28, 0xffff, v10                             // 000000002858: 263814FF 0000FFFF
	v_lshrrev_b32_e32 v29, 16, v10                             // 000000002860: 203A1490
	v_and_b32_e32 v30, 0xffff, v18                             // 000000002864: 263C24FF 0000FFFF
	v_lshrrev_b32_e32 v31, 16, v18                             // 00000000286C: 203E2490
	v_cvt_f32_f16_e32 v28, v28                                 // 000000002870: 7E38171C
	v_cvt_f32_f16_e32 v30, v30                                 // 000000002874: 7E3C171E
	v_cvt_f32_f16_e32 v29, v29                                 // 000000002878: 7E3A171D
	v_cvt_f32_f16_e32 v31, v31                                 // 00000000287C: 7E3E171F
	v_fma_f32 v32, v28, v30, v32                               // 000000002880: D1CB0020 04823D1C
	v_fma_f32 v32, v29, v31, v32                               // 000000002888: D1CB0020 04823F1D
	v_and_b32_e32 v28, 0xffff, v11                             // 000000002890: 263816FF 0000FFFF
	v_lshrrev_b32_e32 v29, 16, v11                             // 000000002898: 203A1690
	v_and_b32_e32 v30, 0xffff, v19                             // 00000000289C: 263C26FF 0000FFFF
	v_lshrrev_b32_e32 v31, 16, v19                             // 0000000028A4: 203E2690
	v_cvt_f32_f16_e32 v28, v28                                 // 0000000028A8: 7E38171C
	v_cvt_f32_f16_e32 v30, v30                                 // 0000000028AC: 7E3C171E
	v_cvt_f32_f16_e32 v29, v29                                 // 0000000028B0: 7E3A171D
	v_cvt_f32_f16_e32 v31, v31                                 // 0000000028B4: 7E3E171F
	v_fma_f32 v32, v28, v30, v32                               // 0000000028B8: D1CB0020 04823D1C
	v_fma_f32 v32, v29, v31, v32                               // 0000000028C0: D1CB0020 04823F1D
	v_and_b32_e32 v28, 0xffff, v12                             // 0000000028C8: 263818FF 0000FFFF
	v_lshrrev_b32_e32 v29, 16, v12                             // 0000000028D0: 203A1890
	v_and_b32_e32 v30, 0xffff, v20                             // 0000000028D4: 263C28FF 0000FFFF
	v_lshrrev_b32_e32 v31, 16, v20                             // 0000000028DC: 203E2890
	v_cvt_f32_f16_e32 v28, v28                                 // 0000000028E0: 7E38171C
	v_cvt_f32_f16_e32 v30, v30                                 // 0000000028E4: 7E3C171E
	v_cvt_f32_f16_e32 v29, v29                                 // 0000000028E8: 7E3A171D
	v_cvt_f32_f16_e32 v31, v31                                 // 0000000028EC: 7E3E171F
	v_fma_f32 v32, v28, v30, v32                               // 0000000028F0: D1CB0020 04823D1C
	v_fma_f32 v32, v29, v31, v32                               // 0000000028F8: D1CB0020 04823F1D
	v_and_b32_e32 v28, 0xffff, v13                             // 000000002900: 26381AFF 0000FFFF
	v_lshrrev_b32_e32 v29, 16, v13                             // 000000002908: 203A1A90
	v_and_b32_e32 v30, 0xffff, v21                             // 00000000290C: 263C2AFF 0000FFFF
	v_lshrrev_b32_e32 v31, 16, v21                             // 000000002914: 203E2A90
	v_cvt_f32_f16_e32 v28, v28                                 // 000000002918: 7E38171C
	v_cvt_f32_f16_e32 v30, v30                                 // 00000000291C: 7E3C171E
	v_cvt_f32_f16_e32 v29, v29                                 // 000000002920: 7E3A171D
	v_cvt_f32_f16_e32 v31, v31                                 // 000000002924: 7E3E171F
	v_fma_f32 v32, v28, v30, v32                               // 000000002928: D1CB0020 04823D1C
	v_fma_f32 v32, v29, v31, v32                               // 000000002930: D1CB0020 04823F1D
	ds_write_b32 v24, v32                                      // 000000002938: D81A0000 00002018
	s_waitcnt lgkmcnt(0)                                       // 000000002940: BF8CC07F
	s_mov_b64 exec, s[48:49]                                   // 000000002944: BEFE0130
	ds_read_b128 v[28:31], v26                                 // 000000002948: D9FE0000 1C00001A
	s_waitcnt lgkmcnt(0)                                       // 000000002950: BF8CC07F
	ds_read_b128 v[32:35], v27                                 // 000000002954: D9FE0000 2000001B
	s_waitcnt lgkmcnt(0)                                       // 00000000295C: BF8CC07F
	v_add_f32_e32 v22, v28, v22                                // 000000002960: 022C2D1C
	v_add_f32_e32 v22, v29, v22                                // 000000002964: 022C2D1D
	v_add_f32_e32 v22, v30, v22                                // 000000002968: 022C2D1E
	v_add_f32_e32 v22, v31, v22                                // 00000000296C: 022C2D1F
	v_add_f32_e32 v22, v32, v22                                // 000000002970: 022C2D20
	v_add_f32_e32 v22, v33, v22                                // 000000002974: 022C2D21
	v_add_f32_e32 v22, v34, v22                                // 000000002978: 022C2D22
	v_add_f32_e32 v22, v35, v22                                // 00000000297C: 022C2D23
	s_mov_b64 exec, -1                                         // 000000002980: BEFE01C1
	s_mul_i32 s31, s8, 1                                       // 000000002984: 921F8108
	s_lshl_b32 s31, s31, 3                                     // 000000002988: 8E1F831F
	v_add_u32_e32 v23, s31, v4                                 // 00000000298C: 682E081F
	s_mul_i32 s31, s52, 1                                      // 000000002990: 921F8134
	s_lshl_b32 s31, s31, 3                                     // 000000002994: 8E1F831F
	v_add_u32_e32 v38, s31, v37                                // 000000002998: 684C4A1F
	v_and_b32_e32 v36, 7, v0                                   // 00000000299C: 26480087
	v_cmp_eq_u32_e64 s[48:49], v36, 2                          // 0000000029A0: D0CA0030 00010524
	buffer_load_dwordx4 v[14:17], v38, s[20:23], 0 offen       // 0000000029A8: E05C1000 80050E26
	buffer_load_dwordx4 v[6:9], v23, s[12:15], 0 offen         // 0000000029B0: E05C1000 80030617
	v_add_u32_e32 v23, 0x80, v23                               // 0000000029B8: 682E2EFF 00000080
	v_add_u32_e32 v38, 0x80, v38                               // 0000000029C0: 684C4CFF 00000080
	s_waitcnt vmcnt(0) expcnt(0) lgkmcnt(0)                    // 0000000029C8: BF8C0000
	s_barrier                                                  // 0000000029CC: BF8A0000
	v_mov_b32_e32 v18, 0                                       // 0000000029D0: 7E240280
	v_mov_b32_e32 v10, 0                                       // 0000000029D4: 7E140280
	v_mov_b32_e32 v19, 0                                       // 0000000029D8: 7E260280
	v_mov_b32_e32 v11, 0                                       // 0000000029DC: 7E160280
	v_mov_b32_e32 v20, 0                                       // 0000000029E0: 7E280280
	v_mov_b32_e32 v12, 0                                       // 0000000029E4: 7E180280
	v_mov_b32_e32 v21, 0                                       // 0000000029E8: 7E2A0280
	v_mov_b32_e32 v13, 0                                       // 0000000029EC: 7E1A0280
	s_mov_b64 exec, s[36:37]                                   // 0000000029F0: BEFE0124
	buffer_load_dwordx4 v[18:21], v38, s[20:23], 0 offen       // 0000000029F4: E05C1000 80051226
	buffer_load_dwordx4 v[10:13], v23, s[12:15], 0 offen       // 0000000029FC: E05C1000 80030A17
	s_mov_b64 exec, -1                                         // 000000002A04: BEFE01C1
	v_add_u32_e32 v23, 0x80, v23                               // 000000002A08: 682E2EFF 00000080
	v_add_u32_e32 v38, 0x80, v38                               // 000000002A10: 684C4CFF 00000080
	v_mov_b32_e32 v32, 0                                       // 000000002A18: 7E400280
	v_and_b32_e32 v28, 0xffff, v6                              // 000000002A1C: 26380CFF 0000FFFF
	v_lshrrev_b32_e32 v29, 16, v6                              // 000000002A24: 203A0C90
	v_and_b32_e32 v30, 0xffff, v14                             // 000000002A28: 263C1CFF 0000FFFF
	v_lshrrev_b32_e32 v31, 16, v14                             // 000000002A30: 203E1C90
	v_cvt_f32_f16_e32 v28, v28                                 // 000000002A34: 7E38171C
	v_cvt_f32_f16_e32 v30, v30                                 // 000000002A38: 7E3C171E
	v_cvt_f32_f16_e32 v29, v29                                 // 000000002A3C: 7E3A171D
	v_cvt_f32_f16_e32 v31, v31                                 // 000000002A40: 7E3E171F
	v_fma_f32 v32, v28, v30, v32                               // 000000002A44: D1CB0020 04823D1C
	v_fma_f32 v32, v29, v31, v32                               // 000000002A4C: D1CB0020 04823F1D
	v_and_b32_e32 v28, 0xffff, v7                              // 000000002A54: 26380EFF 0000FFFF
	v_lshrrev_b32_e32 v29, 16, v7                              // 000000002A5C: 203A0E90
	v_and_b32_e32 v30, 0xffff, v15                             // 000000002A60: 263C1EFF 0000FFFF
	v_lshrrev_b32_e32 v31, 16, v15                             // 000000002A68: 203E1E90
	v_cvt_f32_f16_e32 v28, v28                                 // 000000002A6C: 7E38171C
	v_cvt_f32_f16_e32 v30, v30                                 // 000000002A70: 7E3C171E
	v_cvt_f32_f16_e32 v29, v29                                 // 000000002A74: 7E3A171D
	v_cvt_f32_f16_e32 v31, v31                                 // 000000002A78: 7E3E171F
	v_fma_f32 v32, v28, v30, v32                               // 000000002A7C: D1CB0020 04823D1C
	v_fma_f32 v32, v29, v31, v32                               // 000000002A84: D1CB0020 04823F1D
	v_and_b32_e32 v28, 0xffff, v8                              // 000000002A8C: 263810FF 0000FFFF
	v_lshrrev_b32_e32 v29, 16, v8                              // 000000002A94: 203A1090
	v_and_b32_e32 v30, 0xffff, v16                             // 000000002A98: 263C20FF 0000FFFF
	v_lshrrev_b32_e32 v31, 16, v16                             // 000000002AA0: 203E2090
	v_cvt_f32_f16_e32 v28, v28                                 // 000000002AA4: 7E38171C
	v_cvt_f32_f16_e32 v30, v30                                 // 000000002AA8: 7E3C171E
	v_cvt_f32_f16_e32 v29, v29                                 // 000000002AAC: 7E3A171D
	v_cvt_f32_f16_e32 v31, v31                                 // 000000002AB0: 7E3E171F
	v_fma_f32 v32, v28, v30, v32                               // 000000002AB4: D1CB0020 04823D1C
	v_fma_f32 v32, v29, v31, v32                               // 000000002ABC: D1CB0020 04823F1D
	v_and_b32_e32 v28, 0xffff, v9                              // 000000002AC4: 263812FF 0000FFFF
	v_lshrrev_b32_e32 v29, 16, v9                              // 000000002ACC: 203A1290
	v_and_b32_e32 v30, 0xffff, v17                             // 000000002AD0: 263C22FF 0000FFFF
	v_lshrrev_b32_e32 v31, 16, v17                             // 000000002AD8: 203E2290
	v_cvt_f32_f16_e32 v28, v28                                 // 000000002ADC: 7E38171C
	v_cvt_f32_f16_e32 v30, v30                                 // 000000002AE0: 7E3C171E
	v_cvt_f32_f16_e32 v29, v29                                 // 000000002AE4: 7E3A171D
	v_cvt_f32_f16_e32 v31, v31                                 // 000000002AE8: 7E3E171F
	v_fma_f32 v32, v28, v30, v32                               // 000000002AEC: D1CB0020 04823D1C
	v_fma_f32 v32, v29, v31, v32                               // 000000002AF4: D1CB0020 04823F1D
	ds_write_b32 v24, v32                                      // 000000002AFC: D81A0000 00002018
	s_waitcnt lgkmcnt(0)                                       // 000000002B04: BF8CC07F
	s_mov_b64 exec, s[48:49]                                   // 000000002B08: BEFE0130
	ds_read_b128 v[28:31], v26                                 // 000000002B0C: D9FE0000 1C00001A
	s_waitcnt lgkmcnt(0)                                       // 000000002B14: BF8CC07F
	ds_read_b128 v[32:35], v27                                 // 000000002B18: D9FE0000 2000001B
	s_waitcnt lgkmcnt(0)                                       // 000000002B20: BF8CC07F
	v_add_f32_e32 v22, v28, v22                                // 000000002B24: 022C2D1C
	v_add_f32_e32 v22, v29, v22                                // 000000002B28: 022C2D1D
	v_add_f32_e32 v22, v30, v22                                // 000000002B2C: 022C2D1E
	v_add_f32_e32 v22, v31, v22                                // 000000002B30: 022C2D1F
	v_add_f32_e32 v22, v32, v22                                // 000000002B34: 022C2D20
	v_add_f32_e32 v22, v33, v22                                // 000000002B38: 022C2D21
	v_add_f32_e32 v22, v34, v22                                // 000000002B3C: 022C2D22
	v_add_f32_e32 v22, v35, v22                                // 000000002B40: 022C2D23
	s_mov_b64 exec, -1                                         // 000000002B44: BEFE01C1
	s_waitcnt vmcnt(0) expcnt(0) lgkmcnt(0)                    // 000000002B48: BF8C0000
	s_barrier                                                  // 000000002B4C: BF8A0000
	v_mov_b32_e32 v32, 0                                       // 000000002B50: 7E400280
	v_and_b32_e32 v28, 0xffff, v10                             // 000000002B54: 263814FF 0000FFFF
	v_lshrrev_b32_e32 v29, 16, v10                             // 000000002B5C: 203A1490
	v_and_b32_e32 v30, 0xffff, v18                             // 000000002B60: 263C24FF 0000FFFF
	v_lshrrev_b32_e32 v31, 16, v18                             // 000000002B68: 203E2490
	v_cvt_f32_f16_e32 v28, v28                                 // 000000002B6C: 7E38171C
	v_cvt_f32_f16_e32 v30, v30                                 // 000000002B70: 7E3C171E
	v_cvt_f32_f16_e32 v29, v29                                 // 000000002B74: 7E3A171D
	v_cvt_f32_f16_e32 v31, v31                                 // 000000002B78: 7E3E171F
	v_fma_f32 v32, v28, v30, v32                               // 000000002B7C: D1CB0020 04823D1C
	v_fma_f32 v32, v29, v31, v32                               // 000000002B84: D1CB0020 04823F1D
	v_and_b32_e32 v28, 0xffff, v11                             // 000000002B8C: 263816FF 0000FFFF
	v_lshrrev_b32_e32 v29, 16, v11                             // 000000002B94: 203A1690
	v_and_b32_e32 v30, 0xffff, v19                             // 000000002B98: 263C26FF 0000FFFF
	v_lshrrev_b32_e32 v31, 16, v19                             // 000000002BA0: 203E2690
	v_cvt_f32_f16_e32 v28, v28                                 // 000000002BA4: 7E38171C
	v_cvt_f32_f16_e32 v30, v30                                 // 000000002BA8: 7E3C171E
	v_cvt_f32_f16_e32 v29, v29                                 // 000000002BAC: 7E3A171D
	v_cvt_f32_f16_e32 v31, v31                                 // 000000002BB0: 7E3E171F
	v_fma_f32 v32, v28, v30, v32                               // 000000002BB4: D1CB0020 04823D1C
	v_fma_f32 v32, v29, v31, v32                               // 000000002BBC: D1CB0020 04823F1D
	v_and_b32_e32 v28, 0xffff, v12                             // 000000002BC4: 263818FF 0000FFFF
	v_lshrrev_b32_e32 v29, 16, v12                             // 000000002BCC: 203A1890
	v_and_b32_e32 v30, 0xffff, v20                             // 000000002BD0: 263C28FF 0000FFFF
	v_lshrrev_b32_e32 v31, 16, v20                             // 000000002BD8: 203E2890
	v_cvt_f32_f16_e32 v28, v28                                 // 000000002BDC: 7E38171C
	v_cvt_f32_f16_e32 v30, v30                                 // 000000002BE0: 7E3C171E
	v_cvt_f32_f16_e32 v29, v29                                 // 000000002BE4: 7E3A171D
	v_cvt_f32_f16_e32 v31, v31                                 // 000000002BE8: 7E3E171F
	v_fma_f32 v32, v28, v30, v32                               // 000000002BEC: D1CB0020 04823D1C
	v_fma_f32 v32, v29, v31, v32                               // 000000002BF4: D1CB0020 04823F1D
	v_and_b32_e32 v28, 0xffff, v13                             // 000000002BFC: 26381AFF 0000FFFF
	v_lshrrev_b32_e32 v29, 16, v13                             // 000000002C04: 203A1A90
	v_and_b32_e32 v30, 0xffff, v21                             // 000000002C08: 263C2AFF 0000FFFF
	v_lshrrev_b32_e32 v31, 16, v21                             // 000000002C10: 203E2A90
	v_cvt_f32_f16_e32 v28, v28                                 // 000000002C14: 7E38171C
	v_cvt_f32_f16_e32 v30, v30                                 // 000000002C18: 7E3C171E
	v_cvt_f32_f16_e32 v29, v29                                 // 000000002C1C: 7E3A171D
	v_cvt_f32_f16_e32 v31, v31                                 // 000000002C20: 7E3E171F
	v_fma_f32 v32, v28, v30, v32                               // 000000002C24: D1CB0020 04823D1C
	v_fma_f32 v32, v29, v31, v32                               // 000000002C2C: D1CB0020 04823F1D
	ds_write_b32 v24, v32                                      // 000000002C34: D81A0000 00002018
	s_waitcnt lgkmcnt(0)                                       // 000000002C3C: BF8CC07F
	s_mov_b64 exec, s[48:49]                                   // 000000002C40: BEFE0130
	ds_read_b128 v[28:31], v26                                 // 000000002C44: D9FE0000 1C00001A
	s_waitcnt lgkmcnt(0)                                       // 000000002C4C: BF8CC07F
	ds_read_b128 v[32:35], v27                                 // 000000002C50: D9FE0000 2000001B
	s_waitcnt lgkmcnt(0)                                       // 000000002C58: BF8CC07F
	v_add_f32_e32 v22, v28, v22                                // 000000002C5C: 022C2D1C
	v_add_f32_e32 v22, v29, v22                                // 000000002C60: 022C2D1D
	v_add_f32_e32 v22, v30, v22                                // 000000002C64: 022C2D1E
	v_add_f32_e32 v22, v31, v22                                // 000000002C68: 022C2D1F
	v_add_f32_e32 v22, v32, v22                                // 000000002C6C: 022C2D20
	v_add_f32_e32 v22, v33, v22                                // 000000002C70: 022C2D21
	v_add_f32_e32 v22, v34, v22                                // 000000002C74: 022C2D22
	v_add_f32_e32 v22, v35, v22                                // 000000002C78: 022C2D23
	s_mov_b64 exec, -1                                         // 000000002C7C: BEFE01C1
	s_mul_i32 s31, s8, 2                                       // 000000002C80: 921F8208
	s_lshl_b32 s31, s31, 3                                     // 000000002C84: 8E1F831F
	v_add_u32_e32 v23, s31, v4                                 // 000000002C88: 682E081F
	s_mul_i32 s31, s52, 2                                      // 000000002C8C: 921F8234
	s_lshl_b32 s31, s31, 3                                     // 000000002C90: 8E1F831F
	v_add_u32_e32 v38, s31, v37                                // 000000002C94: 684C4A1F
	v_and_b32_e32 v36, 7, v0                                   // 000000002C98: 26480087
	v_cmp_eq_u32_e64 s[48:49], v36, 4                          // 000000002C9C: D0CA0030 00010924
	buffer_load_dwordx4 v[14:17], v38, s[20:23], 0 offen       // 000000002CA4: E05C1000 80050E26
	buffer_load_dwordx4 v[6:9], v23, s[12:15], 0 offen         // 000000002CAC: E05C1000 80030617
	v_add_u32_e32 v23, 0x80, v23                               // 000000002CB4: 682E2EFF 00000080
	v_add_u32_e32 v38, 0x80, v38                               // 000000002CBC: 684C4CFF 00000080
	s_waitcnt vmcnt(0) expcnt(0) lgkmcnt(0)                    // 000000002CC4: BF8C0000
	s_barrier                                                  // 000000002CC8: BF8A0000
	v_mov_b32_e32 v18, 0                                       // 000000002CCC: 7E240280
	v_mov_b32_e32 v10, 0                                       // 000000002CD0: 7E140280
	v_mov_b32_e32 v19, 0                                       // 000000002CD4: 7E260280
	v_mov_b32_e32 v11, 0                                       // 000000002CD8: 7E160280
	v_mov_b32_e32 v20, 0                                       // 000000002CDC: 7E280280
	v_mov_b32_e32 v12, 0                                       // 000000002CE0: 7E180280
	v_mov_b32_e32 v21, 0                                       // 000000002CE4: 7E2A0280
	v_mov_b32_e32 v13, 0                                       // 000000002CE8: 7E1A0280
	s_mov_b64 exec, s[36:37]                                   // 000000002CEC: BEFE0124
	buffer_load_dwordx4 v[18:21], v38, s[20:23], 0 offen       // 000000002CF0: E05C1000 80051226
	buffer_load_dwordx4 v[10:13], v23, s[12:15], 0 offen       // 000000002CF8: E05C1000 80030A17
	s_mov_b64 exec, -1                                         // 000000002D00: BEFE01C1
	v_add_u32_e32 v23, 0x80, v23                               // 000000002D04: 682E2EFF 00000080
	v_add_u32_e32 v38, 0x80, v38                               // 000000002D0C: 684C4CFF 00000080
	v_mov_b32_e32 v32, 0                                       // 000000002D14: 7E400280
	v_and_b32_e32 v28, 0xffff, v6                              // 000000002D18: 26380CFF 0000FFFF
	v_lshrrev_b32_e32 v29, 16, v6                              // 000000002D20: 203A0C90
	v_and_b32_e32 v30, 0xffff, v14                             // 000000002D24: 263C1CFF 0000FFFF
	v_lshrrev_b32_e32 v31, 16, v14                             // 000000002D2C: 203E1C90
	v_cvt_f32_f16_e32 v28, v28                                 // 000000002D30: 7E38171C
	v_cvt_f32_f16_e32 v30, v30                                 // 000000002D34: 7E3C171E
	v_cvt_f32_f16_e32 v29, v29                                 // 000000002D38: 7E3A171D
	v_cvt_f32_f16_e32 v31, v31                                 // 000000002D3C: 7E3E171F
	v_fma_f32 v32, v28, v30, v32                               // 000000002D40: D1CB0020 04823D1C
	v_fma_f32 v32, v29, v31, v32                               // 000000002D48: D1CB0020 04823F1D
	v_and_b32_e32 v28, 0xffff, v7                              // 000000002D50: 26380EFF 0000FFFF
	v_lshrrev_b32_e32 v29, 16, v7                              // 000000002D58: 203A0E90
	v_and_b32_e32 v30, 0xffff, v15                             // 000000002D5C: 263C1EFF 0000FFFF
	v_lshrrev_b32_e32 v31, 16, v15                             // 000000002D64: 203E1E90
	v_cvt_f32_f16_e32 v28, v28                                 // 000000002D68: 7E38171C
	v_cvt_f32_f16_e32 v30, v30                                 // 000000002D6C: 7E3C171E
	v_cvt_f32_f16_e32 v29, v29                                 // 000000002D70: 7E3A171D
	v_cvt_f32_f16_e32 v31, v31                                 // 000000002D74: 7E3E171F
	v_fma_f32 v32, v28, v30, v32                               // 000000002D78: D1CB0020 04823D1C
	v_fma_f32 v32, v29, v31, v32                               // 000000002D80: D1CB0020 04823F1D
	v_and_b32_e32 v28, 0xffff, v8                              // 000000002D88: 263810FF 0000FFFF
	v_lshrrev_b32_e32 v29, 16, v8                              // 000000002D90: 203A1090
	v_and_b32_e32 v30, 0xffff, v16                             // 000000002D94: 263C20FF 0000FFFF
	v_lshrrev_b32_e32 v31, 16, v16                             // 000000002D9C: 203E2090
	v_cvt_f32_f16_e32 v28, v28                                 // 000000002DA0: 7E38171C
	v_cvt_f32_f16_e32 v30, v30                                 // 000000002DA4: 7E3C171E
	v_cvt_f32_f16_e32 v29, v29                                 // 000000002DA8: 7E3A171D
	v_cvt_f32_f16_e32 v31, v31                                 // 000000002DAC: 7E3E171F
	v_fma_f32 v32, v28, v30, v32                               // 000000002DB0: D1CB0020 04823D1C
	v_fma_f32 v32, v29, v31, v32                               // 000000002DB8: D1CB0020 04823F1D
	v_and_b32_e32 v28, 0xffff, v9                              // 000000002DC0: 263812FF 0000FFFF
	v_lshrrev_b32_e32 v29, 16, v9                              // 000000002DC8: 203A1290
	v_and_b32_e32 v30, 0xffff, v17                             // 000000002DCC: 263C22FF 0000FFFF
	v_lshrrev_b32_e32 v31, 16, v17                             // 000000002DD4: 203E2290
	v_cvt_f32_f16_e32 v28, v28                                 // 000000002DD8: 7E38171C
	v_cvt_f32_f16_e32 v30, v30                                 // 000000002DDC: 7E3C171E
	v_cvt_f32_f16_e32 v29, v29                                 // 000000002DE0: 7E3A171D
	v_cvt_f32_f16_e32 v31, v31                                 // 000000002DE4: 7E3E171F
	v_fma_f32 v32, v28, v30, v32                               // 000000002DE8: D1CB0020 04823D1C
	v_fma_f32 v32, v29, v31, v32                               // 000000002DF0: D1CB0020 04823F1D
	ds_write_b32 v24, v32                                      // 000000002DF8: D81A0000 00002018
	s_waitcnt lgkmcnt(0)                                       // 000000002E00: BF8CC07F
	s_mov_b64 exec, s[48:49]                                   // 000000002E04: BEFE0130
	ds_read_b128 v[28:31], v26                                 // 000000002E08: D9FE0000 1C00001A
	s_waitcnt lgkmcnt(0)                                       // 000000002E10: BF8CC07F
	ds_read_b128 v[32:35], v27                                 // 000000002E14: D9FE0000 2000001B
	s_waitcnt lgkmcnt(0)                                       // 000000002E1C: BF8CC07F
	v_add_f32_e32 v22, v28, v22                                // 000000002E20: 022C2D1C
	v_add_f32_e32 v22, v29, v22                                // 000000002E24: 022C2D1D
	v_add_f32_e32 v22, v30, v22                                // 000000002E28: 022C2D1E
	v_add_f32_e32 v22, v31, v22                                // 000000002E2C: 022C2D1F
	v_add_f32_e32 v22, v32, v22                                // 000000002E30: 022C2D20
	v_add_f32_e32 v22, v33, v22                                // 000000002E34: 022C2D21
	v_add_f32_e32 v22, v34, v22                                // 000000002E38: 022C2D22
	v_add_f32_e32 v22, v35, v22                                // 000000002E3C: 022C2D23
	s_mov_b64 exec, -1                                         // 000000002E40: BEFE01C1
	s_waitcnt vmcnt(0) expcnt(0) lgkmcnt(0)                    // 000000002E44: BF8C0000
	s_barrier                                                  // 000000002E48: BF8A0000
	v_mov_b32_e32 v32, 0                                       // 000000002E4C: 7E400280
	v_and_b32_e32 v28, 0xffff, v10                             // 000000002E50: 263814FF 0000FFFF
	v_lshrrev_b32_e32 v29, 16, v10                             // 000000002E58: 203A1490
	v_and_b32_e32 v30, 0xffff, v18                             // 000000002E5C: 263C24FF 0000FFFF
	v_lshrrev_b32_e32 v31, 16, v18                             // 000000002E64: 203E2490
	v_cvt_f32_f16_e32 v28, v28                                 // 000000002E68: 7E38171C
	v_cvt_f32_f16_e32 v30, v30                                 // 000000002E6C: 7E3C171E
	v_cvt_f32_f16_e32 v29, v29                                 // 000000002E70: 7E3A171D
	v_cvt_f32_f16_e32 v31, v31                                 // 000000002E74: 7E3E171F
	v_fma_f32 v32, v28, v30, v32                               // 000000002E78: D1CB0020 04823D1C
	v_fma_f32 v32, v29, v31, v32                               // 000000002E80: D1CB0020 04823F1D
	v_and_b32_e32 v28, 0xffff, v11                             // 000000002E88: 263816FF 0000FFFF
	v_lshrrev_b32_e32 v29, 16, v11                             // 000000002E90: 203A1690
	v_and_b32_e32 v30, 0xffff, v19                             // 000000002E94: 263C26FF 0000FFFF
	v_lshrrev_b32_e32 v31, 16, v19                             // 000000002E9C: 203E2690
	v_cvt_f32_f16_e32 v28, v28                                 // 000000002EA0: 7E38171C
	v_cvt_f32_f16_e32 v30, v30                                 // 000000002EA4: 7E3C171E
	v_cvt_f32_f16_e32 v29, v29                                 // 000000002EA8: 7E3A171D
	v_cvt_f32_f16_e32 v31, v31                                 // 000000002EAC: 7E3E171F
	v_fma_f32 v32, v28, v30, v32                               // 000000002EB0: D1CB0020 04823D1C
	v_fma_f32 v32, v29, v31, v32                               // 000000002EB8: D1CB0020 04823F1D
	v_and_b32_e32 v28, 0xffff, v12                             // 000000002EC0: 263818FF 0000FFFF
	v_lshrrev_b32_e32 v29, 16, v12                             // 000000002EC8: 203A1890
	v_and_b32_e32 v30, 0xffff, v20                             // 000000002ECC: 263C28FF 0000FFFF
	v_lshrrev_b32_e32 v31, 16, v20                             // 000000002ED4: 203E2890
	v_cvt_f32_f16_e32 v28, v28                                 // 000000002ED8: 7E38171C
	v_cvt_f32_f16_e32 v30, v30                                 // 000000002EDC: 7E3C171E
	v_cvt_f32_f16_e32 v29, v29                                 // 000000002EE0: 7E3A171D
	v_cvt_f32_f16_e32 v31, v31                                 // 000000002EE4: 7E3E171F
	v_fma_f32 v32, v28, v30, v32                               // 000000002EE8: D1CB0020 04823D1C
	v_fma_f32 v32, v29, v31, v32                               // 000000002EF0: D1CB0020 04823F1D
	v_and_b32_e32 v28, 0xffff, v13                             // 000000002EF8: 26381AFF 0000FFFF
	v_lshrrev_b32_e32 v29, 16, v13                             // 000000002F00: 203A1A90
	v_and_b32_e32 v30, 0xffff, v21                             // 000000002F04: 263C2AFF 0000FFFF
	v_lshrrev_b32_e32 v31, 16, v21                             // 000000002F0C: 203E2A90
	v_cvt_f32_f16_e32 v28, v28                                 // 000000002F10: 7E38171C
	v_cvt_f32_f16_e32 v30, v30                                 // 000000002F14: 7E3C171E
	v_cvt_f32_f16_e32 v29, v29                                 // 000000002F18: 7E3A171D
	v_cvt_f32_f16_e32 v31, v31                                 // 000000002F1C: 7E3E171F
	v_fma_f32 v32, v28, v30, v32                               // 000000002F20: D1CB0020 04823D1C
	v_fma_f32 v32, v29, v31, v32                               // 000000002F28: D1CB0020 04823F1D
	ds_write_b32 v24, v32                                      // 000000002F30: D81A0000 00002018
	s_waitcnt lgkmcnt(0)                                       // 000000002F38: BF8CC07F
	s_mov_b64 exec, s[48:49]                                   // 000000002F3C: BEFE0130
	ds_read_b128 v[28:31], v26                                 // 000000002F40: D9FE0000 1C00001A
	s_waitcnt lgkmcnt(0)                                       // 000000002F48: BF8CC07F
	ds_read_b128 v[32:35], v27                                 // 000000002F4C: D9FE0000 2000001B
	s_waitcnt lgkmcnt(0)                                       // 000000002F54: BF8CC07F
	v_add_f32_e32 v22, v28, v22                                // 000000002F58: 022C2D1C
	v_add_f32_e32 v22, v29, v22                                // 000000002F5C: 022C2D1D
	v_add_f32_e32 v22, v30, v22                                // 000000002F60: 022C2D1E
	v_add_f32_e32 v22, v31, v22                                // 000000002F64: 022C2D1F
	v_add_f32_e32 v22, v32, v22                                // 000000002F68: 022C2D20
	v_add_f32_e32 v22, v33, v22                                // 000000002F6C: 022C2D21
	v_add_f32_e32 v22, v34, v22                                // 000000002F70: 022C2D22
	v_add_f32_e32 v22, v35, v22                                // 000000002F74: 022C2D23
	s_mov_b64 exec, -1                                         // 000000002F78: BEFE01C1
	s_mul_i32 s31, s8, 3                                       // 000000002F7C: 921F8308
	s_lshl_b32 s31, s31, 3                                     // 000000002F80: 8E1F831F
	v_add_u32_e32 v23, s31, v4                                 // 000000002F84: 682E081F
	s_mul_i32 s31, s52, 3                                      // 000000002F88: 921F8334
	s_lshl_b32 s31, s31, 3                                     // 000000002F8C: 8E1F831F
	v_add_u32_e32 v38, s31, v37                                // 000000002F90: 684C4A1F
	v_and_b32_e32 v36, 7, v0                                   // 000000002F94: 26480087
	v_cmp_eq_u32_e64 s[48:49], v36, 6                          // 000000002F98: D0CA0030 00010D24
	buffer_load_dwordx4 v[14:17], v38, s[20:23], 0 offen       // 000000002FA0: E05C1000 80050E26
	buffer_load_dwordx4 v[6:9], v23, s[12:15], 0 offen         // 000000002FA8: E05C1000 80030617
	v_add_u32_e32 v23, 0x80, v23                               // 000000002FB0: 682E2EFF 00000080
	v_add_u32_e32 v38, 0x80, v38                               // 000000002FB8: 684C4CFF 00000080
	s_waitcnt vmcnt(0) expcnt(0) lgkmcnt(0)                    // 000000002FC0: BF8C0000
	s_barrier                                                  // 000000002FC4: BF8A0000
	v_mov_b32_e32 v18, 0                                       // 000000002FC8: 7E240280
	v_mov_b32_e32 v10, 0                                       // 000000002FCC: 7E140280
	v_mov_b32_e32 v19, 0                                       // 000000002FD0: 7E260280
	v_mov_b32_e32 v11, 0                                       // 000000002FD4: 7E160280
	v_mov_b32_e32 v20, 0                                       // 000000002FD8: 7E280280
	v_mov_b32_e32 v12, 0                                       // 000000002FDC: 7E180280
	v_mov_b32_e32 v21, 0                                       // 000000002FE0: 7E2A0280
	v_mov_b32_e32 v13, 0                                       // 000000002FE4: 7E1A0280
	s_mov_b64 exec, s[36:37]                                   // 000000002FE8: BEFE0124
	buffer_load_dwordx4 v[18:21], v38, s[20:23], 0 offen       // 000000002FEC: E05C1000 80051226
	buffer_load_dwordx4 v[10:13], v23, s[12:15], 0 offen       // 000000002FF4: E05C1000 80030A17
	s_mov_b64 exec, -1                                         // 000000002FFC: BEFE01C1
	v_add_u32_e32 v23, 0x80, v23                               // 000000003000: 682E2EFF 00000080
	v_add_u32_e32 v38, 0x80, v38                               // 000000003008: 684C4CFF 00000080
	v_mov_b32_e32 v32, 0                                       // 000000003010: 7E400280
	v_and_b32_e32 v28, 0xffff, v6                              // 000000003014: 26380CFF 0000FFFF
	v_lshrrev_b32_e32 v29, 16, v6                              // 00000000301C: 203A0C90
	v_and_b32_e32 v30, 0xffff, v14                             // 000000003020: 263C1CFF 0000FFFF
	v_lshrrev_b32_e32 v31, 16, v14                             // 000000003028: 203E1C90
	v_cvt_f32_f16_e32 v28, v28                                 // 00000000302C: 7E38171C
	v_cvt_f32_f16_e32 v30, v30                                 // 000000003030: 7E3C171E
	v_cvt_f32_f16_e32 v29, v29                                 // 000000003034: 7E3A171D
	v_cvt_f32_f16_e32 v31, v31                                 // 000000003038: 7E3E171F
	v_fma_f32 v32, v28, v30, v32                               // 00000000303C: D1CB0020 04823D1C
	v_fma_f32 v32, v29, v31, v32                               // 000000003044: D1CB0020 04823F1D
	v_and_b32_e32 v28, 0xffff, v7                              // 00000000304C: 26380EFF 0000FFFF
	v_lshrrev_b32_e32 v29, 16, v7                              // 000000003054: 203A0E90
	v_and_b32_e32 v30, 0xffff, v15                             // 000000003058: 263C1EFF 0000FFFF
	v_lshrrev_b32_e32 v31, 16, v15                             // 000000003060: 203E1E90
	v_cvt_f32_f16_e32 v28, v28                                 // 000000003064: 7E38171C
	v_cvt_f32_f16_e32 v30, v30                                 // 000000003068: 7E3C171E
	v_cvt_f32_f16_e32 v29, v29                                 // 00000000306C: 7E3A171D
	v_cvt_f32_f16_e32 v31, v31                                 // 000000003070: 7E3E171F
	v_fma_f32 v32, v28, v30, v32                               // 000000003074: D1CB0020 04823D1C
	v_fma_f32 v32, v29, v31, v32                               // 00000000307C: D1CB0020 04823F1D
	v_and_b32_e32 v28, 0xffff, v8                              // 000000003084: 263810FF 0000FFFF
	v_lshrrev_b32_e32 v29, 16, v8                              // 00000000308C: 203A1090
	v_and_b32_e32 v30, 0xffff, v16                             // 000000003090: 263C20FF 0000FFFF
	v_lshrrev_b32_e32 v31, 16, v16                             // 000000003098: 203E2090
	v_cvt_f32_f16_e32 v28, v28                                 // 00000000309C: 7E38171C
	v_cvt_f32_f16_e32 v30, v30                                 // 0000000030A0: 7E3C171E
	v_cvt_f32_f16_e32 v29, v29                                 // 0000000030A4: 7E3A171D
	v_cvt_f32_f16_e32 v31, v31                                 // 0000000030A8: 7E3E171F
	v_fma_f32 v32, v28, v30, v32                               // 0000000030AC: D1CB0020 04823D1C
	v_fma_f32 v32, v29, v31, v32                               // 0000000030B4: D1CB0020 04823F1D
	v_and_b32_e32 v28, 0xffff, v9                              // 0000000030BC: 263812FF 0000FFFF
	v_lshrrev_b32_e32 v29, 16, v9                              // 0000000030C4: 203A1290
	v_and_b32_e32 v30, 0xffff, v17                             // 0000000030C8: 263C22FF 0000FFFF
	v_lshrrev_b32_e32 v31, 16, v17                             // 0000000030D0: 203E2290
	v_cvt_f32_f16_e32 v28, v28                                 // 0000000030D4: 7E38171C
	v_cvt_f32_f16_e32 v30, v30                                 // 0000000030D8: 7E3C171E
	v_cvt_f32_f16_e32 v29, v29                                 // 0000000030DC: 7E3A171D
	v_cvt_f32_f16_e32 v31, v31                                 // 0000000030E0: 7E3E171F
	v_fma_f32 v32, v28, v30, v32                               // 0000000030E4: D1CB0020 04823D1C
	v_fma_f32 v32, v29, v31, v32                               // 0000000030EC: D1CB0020 04823F1D
	ds_write_b32 v24, v32                                      // 0000000030F4: D81A0000 00002018
	s_waitcnt lgkmcnt(0)                                       // 0000000030FC: BF8CC07F
	s_mov_b64 exec, s[48:49]                                   // 000000003100: BEFE0130
	ds_read_b128 v[28:31], v26                                 // 000000003104: D9FE0000 1C00001A
	s_waitcnt lgkmcnt(0)                                       // 00000000310C: BF8CC07F
	ds_read_b128 v[32:35], v27                                 // 000000003110: D9FE0000 2000001B
	s_waitcnt lgkmcnt(0)                                       // 000000003118: BF8CC07F
	v_add_f32_e32 v22, v28, v22                                // 00000000311C: 022C2D1C
	v_add_f32_e32 v22, v29, v22                                // 000000003120: 022C2D1D
	v_add_f32_e32 v22, v30, v22                                // 000000003124: 022C2D1E
	v_add_f32_e32 v22, v31, v22                                // 000000003128: 022C2D1F
	v_add_f32_e32 v22, v32, v22                                // 00000000312C: 022C2D20
	v_add_f32_e32 v22, v33, v22                                // 000000003130: 022C2D21
	v_add_f32_e32 v22, v34, v22                                // 000000003134: 022C2D22
	v_add_f32_e32 v22, v35, v22                                // 000000003138: 022C2D23
	s_mov_b64 exec, -1                                         // 00000000313C: BEFE01C1
	s_waitcnt vmcnt(0) expcnt(0) lgkmcnt(0)                    // 000000003140: BF8C0000
	s_barrier                                                  // 000000003144: BF8A0000
	v_mov_b32_e32 v32, 0                                       // 000000003148: 7E400280
	v_and_b32_e32 v28, 0xffff, v10                             // 00000000314C: 263814FF 0000FFFF
	v_lshrrev_b32_e32 v29, 16, v10                             // 000000003154: 203A1490
	v_and_b32_e32 v30, 0xffff, v18                             // 000000003158: 263C24FF 0000FFFF
	v_lshrrev_b32_e32 v31, 16, v18                             // 000000003160: 203E2490
	v_cvt_f32_f16_e32 v28, v28                                 // 000000003164: 7E38171C
	v_cvt_f32_f16_e32 v30, v30                                 // 000000003168: 7E3C171E
	v_cvt_f32_f16_e32 v29, v29                                 // 00000000316C: 7E3A171D
	v_cvt_f32_f16_e32 v31, v31                                 // 000000003170: 7E3E171F
	v_fma_f32 v32, v28, v30, v32                               // 000000003174: D1CB0020 04823D1C
	v_fma_f32 v32, v29, v31, v32                               // 00000000317C: D1CB0020 04823F1D
	v_and_b32_e32 v28, 0xffff, v11                             // 000000003184: 263816FF 0000FFFF
	v_lshrrev_b32_e32 v29, 16, v11                             // 00000000318C: 203A1690
	v_and_b32_e32 v30, 0xffff, v19                             // 000000003190: 263C26FF 0000FFFF
	v_lshrrev_b32_e32 v31, 16, v19                             // 000000003198: 203E2690
	v_cvt_f32_f16_e32 v28, v28                                 // 00000000319C: 7E38171C
	v_cvt_f32_f16_e32 v30, v30                                 // 0000000031A0: 7E3C171E
	v_cvt_f32_f16_e32 v29, v29                                 // 0000000031A4: 7E3A171D
	v_cvt_f32_f16_e32 v31, v31                                 // 0000000031A8: 7E3E171F
	v_fma_f32 v32, v28, v30, v32                               // 0000000031AC: D1CB0020 04823D1C
	v_fma_f32 v32, v29, v31, v32                               // 0000000031B4: D1CB0020 04823F1D
	v_and_b32_e32 v28, 0xffff, v12                             // 0000000031BC: 263818FF 0000FFFF
	v_lshrrev_b32_e32 v29, 16, v12                             // 0000000031C4: 203A1890
	v_and_b32_e32 v30, 0xffff, v20                             // 0000000031C8: 263C28FF 0000FFFF
	v_lshrrev_b32_e32 v31, 16, v20                             // 0000000031D0: 203E2890
	v_cvt_f32_f16_e32 v28, v28                                 // 0000000031D4: 7E38171C
	v_cvt_f32_f16_e32 v30, v30                                 // 0000000031D8: 7E3C171E
	v_cvt_f32_f16_e32 v29, v29                                 // 0000000031DC: 7E3A171D
	v_cvt_f32_f16_e32 v31, v31                                 // 0000000031E0: 7E3E171F
	v_fma_f32 v32, v28, v30, v32                               // 0000000031E4: D1CB0020 04823D1C
	v_fma_f32 v32, v29, v31, v32                               // 0000000031EC: D1CB0020 04823F1D
	v_and_b32_e32 v28, 0xffff, v13                             // 0000000031F4: 26381AFF 0000FFFF
	v_lshrrev_b32_e32 v29, 16, v13                             // 0000000031FC: 203A1A90
	v_and_b32_e32 v30, 0xffff, v21                             // 000000003200: 263C2AFF 0000FFFF
	v_lshrrev_b32_e32 v31, 16, v21                             // 000000003208: 203E2A90
	v_cvt_f32_f16_e32 v28, v28                                 // 00000000320C: 7E38171C
	v_cvt_f32_f16_e32 v30, v30                                 // 000000003210: 7E3C171E
	v_cvt_f32_f16_e32 v29, v29                                 // 000000003214: 7E3A171D
	v_cvt_f32_f16_e32 v31, v31                                 // 000000003218: 7E3E171F
	v_fma_f32 v32, v28, v30, v32                               // 00000000321C: D1CB0020 04823D1C
	v_fma_f32 v32, v29, v31, v32                               // 000000003224: D1CB0020 04823F1D
	ds_write_b32 v24, v32                                      // 00000000322C: D81A0000 00002018
	s_waitcnt lgkmcnt(0)                                       // 000000003234: BF8CC07F
	s_mov_b64 exec, s[48:49]                                   // 000000003238: BEFE0130
	ds_read_b128 v[28:31], v26                                 // 00000000323C: D9FE0000 1C00001A
	s_waitcnt lgkmcnt(0)                                       // 000000003244: BF8CC07F
	ds_read_b128 v[32:35], v27                                 // 000000003248: D9FE0000 2000001B
	s_waitcnt lgkmcnt(0)                                       // 000000003250: BF8CC07F
	v_add_f32_e32 v22, v28, v22                                // 000000003254: 022C2D1C
	v_add_f32_e32 v22, v29, v22                                // 000000003258: 022C2D1D
	v_add_f32_e32 v22, v30, v22                                // 00000000325C: 022C2D1E
	v_add_f32_e32 v22, v31, v22                                // 000000003260: 022C2D1F
	v_add_f32_e32 v22, v32, v22                                // 000000003264: 022C2D20
	v_add_f32_e32 v22, v33, v22                                // 000000003268: 022C2D21
	v_add_f32_e32 v22, v34, v22                                // 00000000326C: 022C2D22
	v_add_f32_e32 v22, v35, v22                                // 000000003270: 022C2D23
	s_mov_b64 exec, -1                                         // 000000003274: BEFE01C1
	s_mov_b64 exec, s[38:39]                                   // 000000003278: BEFE0126
	buffer_store_dword v22, v5, s[16:19], 0 offen              // 00000000327C: E0701000 80041605

0000000000003284 <label_03A1>:
	s_waitcnt vmcnt(0) expcnt(0) lgkmcnt(0)                    // 000000003284: BF8C0000
	s_endpgm                                                   // 000000003288: BF810000
